;; amdgpu-corpus repo=ROCm/rocFFT kind=compiled arch=gfx1201 opt=O3
	.text
	.amdgcn_target "amdgcn-amd-amdhsa--gfx1201"
	.amdhsa_code_object_version 6
	.protected	fft_rtc_fwd_len260_factors_13_10_2_wgs_52_tpt_26_half_op_CI_CI_sbrr_dirReg ; -- Begin function fft_rtc_fwd_len260_factors_13_10_2_wgs_52_tpt_26_half_op_CI_CI_sbrr_dirReg
	.globl	fft_rtc_fwd_len260_factors_13_10_2_wgs_52_tpt_26_half_op_CI_CI_sbrr_dirReg
	.p2align	8
	.type	fft_rtc_fwd_len260_factors_13_10_2_wgs_52_tpt_26_half_op_CI_CI_sbrr_dirReg,@function
fft_rtc_fwd_len260_factors_13_10_2_wgs_52_tpt_26_half_op_CI_CI_sbrr_dirReg: ; @fft_rtc_fwd_len260_factors_13_10_2_wgs_52_tpt_26_half_op_CI_CI_sbrr_dirReg
; %bb.0:
	s_clause 0x2
	s_load_b128 s[12:15], s[0:1], 0x18
	s_load_b128 s[8:11], s[0:1], 0x0
	;; [unrolled: 1-line block ×3, first 2 shown]
	v_mul_u32_u24_e32 v1, 0x9d9, v0
	v_mov_b32_e32 v8, 0
	v_mov_b32_e32 v6, 0
	;; [unrolled: 1-line block ×3, first 2 shown]
	s_wait_kmcnt 0x0
	s_load_b64 s[18:19], s[12:13], 0x0
	s_load_b64 s[16:17], s[14:15], 0x0
	v_lshrrev_b32_e32 v34, 16, v1
	v_cmp_lt_u64_e64 s2, s[10:11], 2
	v_mov_b32_e32 v11, v8
	s_delay_alu instid0(VALU_DEP_3) | instskip(NEXT) | instid1(VALU_DEP_3)
	v_lshl_add_u32 v10, ttmp9, 1, v34
	s_and_b32 vcc_lo, exec_lo, s2
	s_cbranch_vccnz .LBB0_8
; %bb.1:
	s_load_b64 s[2:3], s[0:1], 0x10
	v_mov_b32_e32 v6, 0
	v_mov_b32_e32 v7, 0
	s_delay_alu instid0(VALU_DEP_2)
	v_mov_b32_e32 v1, v6
	s_add_nc_u64 s[20:21], s[14:15], 8
	s_add_nc_u64 s[22:23], s[12:13], 8
	s_mov_b64 s[24:25], 1
	v_mov_b32_e32 v2, v7
	s_wait_kmcnt 0x0
	s_add_nc_u64 s[26:27], s[2:3], 8
	s_mov_b32 s3, 0
.LBB0_2:                                ; =>This Inner Loop Header: Depth=1
	s_load_b64 s[28:29], s[26:27], 0x0
                                        ; implicit-def: $vgpr3_vgpr4
	s_mov_b32 s2, exec_lo
	s_wait_kmcnt 0x0
	v_or_b32_e32 v9, s29, v11
	s_delay_alu instid0(VALU_DEP_1)
	v_cmpx_ne_u64_e32 0, v[8:9]
	s_wait_alu 0xfffe
	s_xor_b32 s30, exec_lo, s2
	s_cbranch_execz .LBB0_4
; %bb.3:                                ;   in Loop: Header=BB0_2 Depth=1
	s_cvt_f32_u32 s2, s28
	s_cvt_f32_u32 s31, s29
	s_sub_nc_u64 s[36:37], 0, s[28:29]
	s_wait_alu 0xfffe
	s_delay_alu instid0(SALU_CYCLE_1) | instskip(SKIP_1) | instid1(SALU_CYCLE_2)
	s_fmamk_f32 s2, s31, 0x4f800000, s2
	s_wait_alu 0xfffe
	v_s_rcp_f32 s2, s2
	s_delay_alu instid0(TRANS32_DEP_1) | instskip(SKIP_1) | instid1(SALU_CYCLE_2)
	s_mul_f32 s2, s2, 0x5f7ffffc
	s_wait_alu 0xfffe
	s_mul_f32 s31, s2, 0x2f800000
	s_wait_alu 0xfffe
	s_delay_alu instid0(SALU_CYCLE_2) | instskip(SKIP_1) | instid1(SALU_CYCLE_2)
	s_trunc_f32 s31, s31
	s_wait_alu 0xfffe
	s_fmamk_f32 s2, s31, 0xcf800000, s2
	s_cvt_u32_f32 s35, s31
	s_wait_alu 0xfffe
	s_delay_alu instid0(SALU_CYCLE_1) | instskip(SKIP_1) | instid1(SALU_CYCLE_2)
	s_cvt_u32_f32 s34, s2
	s_wait_alu 0xfffe
	s_mul_u64 s[38:39], s[36:37], s[34:35]
	s_wait_alu 0xfffe
	s_mul_hi_u32 s41, s34, s39
	s_mul_i32 s40, s34, s39
	s_mul_hi_u32 s2, s34, s38
	s_mul_i32 s33, s35, s38
	s_wait_alu 0xfffe
	s_add_nc_u64 s[40:41], s[2:3], s[40:41]
	s_mul_hi_u32 s31, s35, s38
	s_mul_hi_u32 s42, s35, s39
	s_add_co_u32 s2, s40, s33
	s_wait_alu 0xfffe
	s_add_co_ci_u32 s2, s41, s31
	s_mul_i32 s38, s35, s39
	s_add_co_ci_u32 s39, s42, 0
	s_wait_alu 0xfffe
	s_add_nc_u64 s[38:39], s[2:3], s[38:39]
	s_wait_alu 0xfffe
	v_add_co_u32 v3, s2, s34, s38
	s_delay_alu instid0(VALU_DEP_1) | instskip(SKIP_1) | instid1(VALU_DEP_1)
	s_cmp_lg_u32 s2, 0
	s_add_co_ci_u32 s35, s35, s39
	v_readfirstlane_b32 s34, v3
	s_wait_alu 0xfffe
	s_delay_alu instid0(VALU_DEP_1)
	s_mul_u64 s[36:37], s[36:37], s[34:35]
	s_wait_alu 0xfffe
	s_mul_hi_u32 s39, s34, s37
	s_mul_i32 s38, s34, s37
	s_mul_hi_u32 s2, s34, s36
	s_mul_i32 s33, s35, s36
	s_wait_alu 0xfffe
	s_add_nc_u64 s[38:39], s[2:3], s[38:39]
	s_mul_hi_u32 s31, s35, s36
	s_mul_hi_u32 s34, s35, s37
	s_wait_alu 0xfffe
	s_add_co_u32 s2, s38, s33
	s_add_co_ci_u32 s2, s39, s31
	s_mul_i32 s36, s35, s37
	s_add_co_ci_u32 s37, s34, 0
	s_wait_alu 0xfffe
	s_add_nc_u64 s[36:37], s[2:3], s[36:37]
	s_wait_alu 0xfffe
	v_add_co_u32 v5, s2, v3, s36
	s_delay_alu instid0(VALU_DEP_1) | instskip(SKIP_1) | instid1(VALU_DEP_1)
	s_cmp_lg_u32 s2, 0
	s_add_co_ci_u32 s2, s35, s37
	v_mul_hi_u32 v9, v10, v5
	s_wait_alu 0xfffe
	v_mad_co_u64_u32 v[3:4], null, v10, s2, 0
	v_mad_co_u64_u32 v[12:13], null, v11, v5, 0
	;; [unrolled: 1-line block ×3, first 2 shown]
	s_delay_alu instid0(VALU_DEP_3) | instskip(SKIP_1) | instid1(VALU_DEP_4)
	v_add_co_u32 v3, vcc_lo, v9, v3
	s_wait_alu 0xfffd
	v_add_co_ci_u32_e32 v4, vcc_lo, 0, v4, vcc_lo
	s_delay_alu instid0(VALU_DEP_2) | instskip(SKIP_1) | instid1(VALU_DEP_2)
	v_add_co_u32 v3, vcc_lo, v3, v12
	s_wait_alu 0xfffd
	v_add_co_ci_u32_e32 v3, vcc_lo, v4, v13, vcc_lo
	s_wait_alu 0xfffd
	v_add_co_ci_u32_e32 v4, vcc_lo, 0, v15, vcc_lo
	s_delay_alu instid0(VALU_DEP_2) | instskip(SKIP_1) | instid1(VALU_DEP_2)
	v_add_co_u32 v5, vcc_lo, v3, v14
	s_wait_alu 0xfffd
	v_add_co_ci_u32_e32 v9, vcc_lo, 0, v4, vcc_lo
	s_delay_alu instid0(VALU_DEP_2) | instskip(SKIP_1) | instid1(VALU_DEP_3)
	v_mul_lo_u32 v12, s29, v5
	v_mad_co_u64_u32 v[3:4], null, s28, v5, 0
	v_mul_lo_u32 v13, s28, v9
	s_delay_alu instid0(VALU_DEP_2) | instskip(NEXT) | instid1(VALU_DEP_2)
	v_sub_co_u32 v3, vcc_lo, v10, v3
	v_add3_u32 v4, v4, v13, v12
	s_delay_alu instid0(VALU_DEP_1) | instskip(SKIP_1) | instid1(VALU_DEP_1)
	v_sub_nc_u32_e32 v12, v11, v4
	s_wait_alu 0xfffd
	v_subrev_co_ci_u32_e64 v12, s2, s29, v12, vcc_lo
	v_add_co_u32 v13, s2, v5, 2
	s_wait_alu 0xf1ff
	v_add_co_ci_u32_e64 v14, s2, 0, v9, s2
	v_sub_co_u32 v15, s2, v3, s28
	v_sub_co_ci_u32_e32 v4, vcc_lo, v11, v4, vcc_lo
	s_wait_alu 0xf1ff
	v_subrev_co_ci_u32_e64 v12, s2, 0, v12, s2
	s_delay_alu instid0(VALU_DEP_3) | instskip(NEXT) | instid1(VALU_DEP_3)
	v_cmp_le_u32_e32 vcc_lo, s28, v15
	v_cmp_eq_u32_e64 s2, s29, v4
	s_wait_alu 0xfffd
	v_cndmask_b32_e64 v15, 0, -1, vcc_lo
	v_cmp_le_u32_e32 vcc_lo, s29, v12
	s_wait_alu 0xfffd
	v_cndmask_b32_e64 v16, 0, -1, vcc_lo
	v_cmp_le_u32_e32 vcc_lo, s28, v3
	;; [unrolled: 3-line block ×3, first 2 shown]
	s_wait_alu 0xfffd
	v_cndmask_b32_e64 v17, 0, -1, vcc_lo
	v_cmp_eq_u32_e32 vcc_lo, s29, v12
	s_wait_alu 0xf1ff
	s_delay_alu instid0(VALU_DEP_2)
	v_cndmask_b32_e64 v3, v17, v3, s2
	s_wait_alu 0xfffd
	v_cndmask_b32_e32 v12, v16, v15, vcc_lo
	v_add_co_u32 v15, vcc_lo, v5, 1
	s_wait_alu 0xfffd
	v_add_co_ci_u32_e32 v16, vcc_lo, 0, v9, vcc_lo
	s_delay_alu instid0(VALU_DEP_3) | instskip(SKIP_2) | instid1(VALU_DEP_3)
	v_cmp_ne_u32_e32 vcc_lo, 0, v12
	s_wait_alu 0xfffd
	v_cndmask_b32_e32 v12, v15, v13, vcc_lo
	v_cndmask_b32_e32 v4, v16, v14, vcc_lo
	v_cmp_ne_u32_e32 vcc_lo, 0, v3
	s_wait_alu 0xfffd
	s_delay_alu instid0(VALU_DEP_3) | instskip(NEXT) | instid1(VALU_DEP_3)
	v_cndmask_b32_e32 v3, v5, v12, vcc_lo
	v_cndmask_b32_e32 v4, v9, v4, vcc_lo
.LBB0_4:                                ;   in Loop: Header=BB0_2 Depth=1
	s_wait_alu 0xfffe
	s_and_not1_saveexec_b32 s2, s30
	s_cbranch_execz .LBB0_6
; %bb.5:                                ;   in Loop: Header=BB0_2 Depth=1
	v_cvt_f32_u32_e32 v3, s28
	s_sub_co_i32 s30, 0, s28
	s_delay_alu instid0(VALU_DEP_1) | instskip(NEXT) | instid1(TRANS32_DEP_1)
	v_rcp_iflag_f32_e32 v3, v3
	v_mul_f32_e32 v3, 0x4f7ffffe, v3
	s_delay_alu instid0(VALU_DEP_1) | instskip(SKIP_1) | instid1(VALU_DEP_1)
	v_cvt_u32_f32_e32 v3, v3
	s_wait_alu 0xfffe
	v_mul_lo_u32 v4, s30, v3
	s_delay_alu instid0(VALU_DEP_1) | instskip(NEXT) | instid1(VALU_DEP_1)
	v_mul_hi_u32 v4, v3, v4
	v_add_nc_u32_e32 v3, v3, v4
	s_delay_alu instid0(VALU_DEP_1) | instskip(NEXT) | instid1(VALU_DEP_1)
	v_mul_hi_u32 v3, v10, v3
	v_mul_lo_u32 v4, v3, s28
	v_add_nc_u32_e32 v5, 1, v3
	s_delay_alu instid0(VALU_DEP_2) | instskip(NEXT) | instid1(VALU_DEP_1)
	v_sub_nc_u32_e32 v4, v10, v4
	v_subrev_nc_u32_e32 v9, s28, v4
	v_cmp_le_u32_e32 vcc_lo, s28, v4
	s_wait_alu 0xfffd
	s_delay_alu instid0(VALU_DEP_2) | instskip(SKIP_1) | instid1(VALU_DEP_2)
	v_cndmask_b32_e32 v4, v4, v9, vcc_lo
	v_cndmask_b32_e32 v3, v3, v5, vcc_lo
	v_cmp_le_u32_e32 vcc_lo, s28, v4
	s_delay_alu instid0(VALU_DEP_2) | instskip(SKIP_1) | instid1(VALU_DEP_1)
	v_dual_mov_b32 v4, v8 :: v_dual_add_nc_u32 v5, 1, v3
	s_wait_alu 0xfffd
	v_cndmask_b32_e32 v3, v3, v5, vcc_lo
.LBB0_6:                                ;   in Loop: Header=BB0_2 Depth=1
	s_wait_alu 0xfffe
	s_or_b32 exec_lo, exec_lo, s2
	v_mul_lo_u32 v5, v4, s28
	s_delay_alu instid0(VALU_DEP_2)
	v_mul_lo_u32 v9, v3, s29
	s_load_b64 s[30:31], s[22:23], 0x0
	v_mad_co_u64_u32 v[12:13], null, v3, s28, 0
	s_load_b64 s[28:29], s[20:21], 0x0
	s_add_nc_u64 s[24:25], s[24:25], 1
	s_add_nc_u64 s[20:21], s[20:21], 8
	s_wait_alu 0xfffe
	v_cmp_ge_u64_e64 s2, s[24:25], s[10:11]
	s_add_nc_u64 s[22:23], s[22:23], 8
	s_add_nc_u64 s[26:27], s[26:27], 8
	v_add3_u32 v5, v13, v9, v5
	v_sub_co_u32 v9, vcc_lo, v10, v12
	s_wait_alu 0xfffd
	s_delay_alu instid0(VALU_DEP_2) | instskip(SKIP_2) | instid1(VALU_DEP_1)
	v_sub_co_ci_u32_e32 v5, vcc_lo, v11, v5, vcc_lo
	s_and_b32 vcc_lo, exec_lo, s2
	s_wait_kmcnt 0x0
	v_mul_lo_u32 v10, s30, v5
	v_mul_lo_u32 v11, s31, v9
	v_mad_co_u64_u32 v[6:7], null, s30, v9, v[6:7]
	v_mul_lo_u32 v5, s28, v5
	v_mul_lo_u32 v12, s29, v9
	v_mad_co_u64_u32 v[1:2], null, s28, v9, v[1:2]
	s_delay_alu instid0(VALU_DEP_4) | instskip(NEXT) | instid1(VALU_DEP_2)
	v_add3_u32 v7, v11, v7, v10
	v_add3_u32 v2, v12, v2, v5
	s_wait_alu 0xfffe
	s_cbranch_vccnz .LBB0_9
; %bb.7:                                ;   in Loop: Header=BB0_2 Depth=1
	v_dual_mov_b32 v11, v4 :: v_dual_mov_b32 v10, v3
	s_branch .LBB0_2
.LBB0_8:
	v_dual_mov_b32 v1, v6 :: v_dual_mov_b32 v2, v7
	s_delay_alu instid0(VALU_DEP_2)
	v_dual_mov_b32 v3, v10 :: v_dual_mov_b32 v4, v11
.LBB0_9:
	s_load_b64 s[0:1], s[0:1], 0x28
	v_mul_hi_u32 v5, 0x9d89d8a, v0
	v_mov_b32_e32 v18, 0
	v_mov_b32_e32 v8, 0
	s_lshl_b64 s[2:3], s[10:11], 3
                                        ; implicit-def: $vgpr33
                                        ; implicit-def: $vgpr15
                                        ; implicit-def: $vgpr32
                                        ; implicit-def: $vgpr14
                                        ; implicit-def: $vgpr31
                                        ; implicit-def: $vgpr13
                                        ; implicit-def: $vgpr30
                                        ; implicit-def: $vgpr12
                                        ; implicit-def: $vgpr29
                                        ; implicit-def: $vgpr11
                                        ; implicit-def: $vgpr28
                                        ; implicit-def: $vgpr10
                                        ; implicit-def: $vgpr27
                                        ; implicit-def: $vgpr9
                                        ; implicit-def: $vgpr25
                                        ; implicit-def: $vgpr20
                                        ; implicit-def: $vgpr24
                                        ; implicit-def: $vgpr19
                                        ; implicit-def: $vgpr22
                                        ; implicit-def: $vgpr16
                                        ; implicit-def: $vgpr23
                                        ; implicit-def: $vgpr17
                                        ; implicit-def: $vgpr26
                                        ; implicit-def: $vgpr21
	s_delay_alu instid0(VALU_DEP_3) | instskip(NEXT) | instid1(VALU_DEP_1)
	v_mul_u32_u24_e32 v5, 26, v5
	v_sub_nc_u32_e32 v5, v0, v5
	s_wait_kmcnt 0x0
	v_cmp_gt_u64_e32 vcc_lo, s[0:1], v[3:4]
	s_delay_alu instid0(VALU_DEP_2) | instskip(NEXT) | instid1(VALU_DEP_1)
	v_cmp_gt_u32_e64 s0, 20, v5
	s_and_b32 s1, vcc_lo, s0
	s_wait_alu 0xfffe
	s_and_saveexec_b32 s10, s1
	s_cbranch_execz .LBB0_11
; %bb.10:
	s_add_nc_u64 s[12:13], s[12:13], s[2:3]
	v_mad_co_u64_u32 v[8:9], null, s18, v5, 0
	s_load_b64 s[12:13], s[12:13], 0x0
	v_add_nc_u32_e32 v21, 20, v5
	v_add_nc_u32_e32 v25, 0x50, v5
	v_lshlrev_b64_e32 v[6:7], 2, v[6:7]
	v_or_b32_e32 v27, 0xa0, v5
	v_add_nc_u32_e32 v26, 0x8c, v5
	v_mov_b32_e32 v0, v9
	v_mad_co_u64_u32 v[10:11], null, s18, v21, 0
	v_add_nc_u32_e32 v23, 40, v5
	v_add_nc_u32_e32 v33, 0xc8, v5
	s_delay_alu instid0(VALU_DEP_4)
	v_mad_co_u64_u32 v[18:19], null, s19, v5, v[0:1]
	v_mad_co_u64_u32 v[19:20], null, s18, v25, 0
	v_mov_b32_e32 v0, v11
	v_mad_co_u64_u32 v[12:13], null, s18, v23, 0
	v_add_nc_u32_e32 v24, 60, v5
	s_wait_kmcnt 0x0
	v_mul_lo_u32 v9, s13, v3
	v_mul_lo_u32 v22, s12, v4
	v_mad_co_u64_u32 v[16:17], null, s12, v3, 0
	v_mov_b32_e32 v11, v13
	v_mad_co_u64_u32 v[14:15], null, s18, v24, 0
	s_delay_alu instid0(VALU_DEP_3) | instskip(SKIP_1) | instid1(VALU_DEP_3)
	v_add3_u32 v17, v17, v22, v9
	v_mad_co_u64_u32 v[21:22], null, s19, v21, v[0:1]
	v_mov_b32_e32 v13, v15
	v_mov_b32_e32 v9, v18
	s_delay_alu instid0(VALU_DEP_4) | instskip(SKIP_1) | instid1(VALU_DEP_4)
	v_lshlrev_b64_e32 v[15:16], 2, v[16:17]
	v_mad_co_u64_u32 v[22:23], null, s19, v23, v[11:12]
	v_mad_co_u64_u32 v[17:18], null, s19, v24, v[13:14]
	v_add_nc_u32_e32 v18, 0x64, v5
	s_delay_alu instid0(VALU_DEP_4) | instskip(SKIP_3) | instid1(VALU_DEP_3)
	v_add_co_u32 v0, s1, s4, v15
	s_wait_alu 0xf1ff
	v_add_co_ci_u32_e64 v15, s1, s5, v16, s1
	v_mov_b32_e32 v11, v21
	v_add_co_u32 v39, s1, v0, v6
	s_wait_alu 0xf1ff
	s_delay_alu instid0(VALU_DEP_3)
	v_add_co_ci_u32_e64 v40, s1, v15, v7, s1
	v_dual_mov_b32 v0, v20 :: v_dual_mov_b32 v15, v17
	v_mad_co_u64_u32 v[16:17], null, s18, v18, 0
	v_mov_b32_e32 v13, v22
	v_lshlrev_b64_e32 v[6:7], 2, v[10:11]
	v_mad_co_u64_u32 v[23:24], null, s18, v26, 0
	s_delay_alu instid0(VALU_DEP_3) | instskip(SKIP_2) | instid1(VALU_DEP_1)
	v_lshlrev_b64_e32 v[10:11], 2, v[12:13]
	v_mad_co_u64_u32 v[12:13], null, s19, v25, v[0:1]
	v_dual_mov_b32 v0, v17 :: v_dual_add_nc_u32 v25, 0x78, v5
	v_mad_co_u64_u32 v[17:18], null, s19, v18, v[0:1]
	v_mov_b32_e32 v18, v24
	s_delay_alu instid0(VALU_DEP_4) | instskip(SKIP_2) | instid1(VALU_DEP_2)
	v_mov_b32_e32 v20, v12
	v_lshlrev_b64_e32 v[8:9], 2, v[8:9]
	v_mad_co_u64_u32 v[21:22], null, s18, v25, 0
	v_add_co_u32 v8, s1, v39, v8
	s_wait_alu 0xf1ff
	s_delay_alu instid0(VALU_DEP_3) | instskip(SKIP_1) | instid1(VALU_DEP_4)
	v_add_co_ci_u32_e64 v9, s1, v40, v9, s1
	v_add_co_u32 v6, s1, v39, v6
	v_mov_b32_e32 v0, v22
	v_lshlrev_b64_e32 v[13:14], 2, v[14:15]
	s_wait_alu 0xf1ff
	v_add_co_ci_u32_e64 v7, s1, v40, v7, s1
	v_add_co_u32 v10, s1, v39, v10
	s_wait_alu 0xf1ff
	v_add_co_ci_u32_e64 v11, s1, v40, v11, s1
	v_add_co_u32 v12, s1, v39, v13
	s_wait_alu 0xf1ff
	v_add_co_ci_u32_e64 v13, s1, v40, v14, s1
	v_lshlrev_b64_e32 v[14:15], 2, v[19:20]
	v_mad_co_u64_u32 v[19:20], null, s19, v25, v[0:1]
	s_delay_alu instid0(VALU_DEP_1) | instskip(NEXT) | instid1(VALU_DEP_3)
	v_mad_co_u64_u32 v[24:25], null, s19, v26, v[18:19]
	v_add_co_u32 v25, s1, v39, v14
	s_wait_alu 0xf1ff
	s_delay_alu instid0(VALU_DEP_4) | instskip(SKIP_3) | instid1(VALU_DEP_3)
	v_add_co_ci_u32_e64 v26, s1, v40, v15, s1
	v_lshlrev_b64_e32 v[14:15], 2, v[16:17]
	v_mad_co_u64_u32 v[16:17], null, s18, v27, 0
	v_mov_b32_e32 v22, v19
	v_add_co_u32 v18, s1, v39, v14
	s_wait_alu 0xf1ff
	s_delay_alu instid0(VALU_DEP_4) | instskip(NEXT) | instid1(VALU_DEP_4)
	v_add_co_ci_u32_e64 v19, s1, v40, v15, s1
	v_mov_b32_e32 v0, v17
	v_lshlrev_b64_e32 v[14:15], 2, v[21:22]
	v_lshlrev_b64_e32 v[20:21], 2, v[23:24]
	s_delay_alu instid0(VALU_DEP_3)
	v_mad_co_u64_u32 v[27:28], null, s19, v27, v[0:1]
	v_add_nc_u32_e32 v32, 0xb4, v5
	v_mad_co_u64_u32 v[28:29], null, s18, v33, 0
	v_add_co_u32 v30, s1, v39, v14
	s_wait_alu 0xf1ff
	v_add_co_ci_u32_e64 v31, s1, v40, v15, s1
	v_mov_b32_e32 v17, v27
	v_mad_co_u64_u32 v[22:23], null, s18, v32, 0
	v_dual_mov_b32 v14, v29 :: v_dual_add_nc_u32 v27, 0xf0, v5
	v_add_co_u32 v20, s1, v39, v20
	s_wait_alu 0xf1ff
	v_add_co_ci_u32_e64 v21, s1, v40, v21, s1
	s_delay_alu instid0(VALU_DEP_4) | instskip(SKIP_1) | instid1(VALU_DEP_2)
	v_mov_b32_e32 v0, v23
	v_mad_co_u64_u32 v[37:38], null, s18, v27, 0
	v_mad_co_u64_u32 v[23:24], null, s19, v32, v[0:1]
	v_add_nc_u32_e32 v24, 0xdc, v5
	v_mad_co_u64_u32 v[32:33], null, s19, v33, v[14:15]
	s_clause 0x7
	global_load_b32 v8, v[8:9], off
	global_load_b32 v15, v[6:7], off
	;; [unrolled: 1-line block ×8, first 2 shown]
	v_lshlrev_b64_e32 v[6:7], 2, v[16:17]
	v_mad_co_u64_u32 v[35:36], null, s18, v24, 0
	v_mov_b32_e32 v29, v32
	s_delay_alu instid0(VALU_DEP_3) | instskip(SKIP_1) | instid1(VALU_DEP_4)
	v_add_co_u32 v6, s1, v39, v6
	s_wait_alu 0xf1ff
	v_add_co_ci_u32_e64 v7, s1, v40, v7, s1
	s_delay_alu instid0(VALU_DEP_4) | instskip(NEXT) | instid1(VALU_DEP_1)
	v_mov_b32_e32 v0, v36
	v_mad_co_u64_u32 v[16:17], null, s19, v24, v[0:1]
	v_mov_b32_e32 v0, v38
	v_lshlrev_b64_e32 v[17:18], 2, v[22:23]
	s_delay_alu instid0(VALU_DEP_2) | instskip(NEXT) | instid1(VALU_DEP_4)
	v_mad_co_u64_u32 v[19:20], null, s19, v27, v[0:1]
	v_mov_b32_e32 v36, v16
	v_lshlrev_b64_e32 v[20:21], 2, v[28:29]
	s_delay_alu instid0(VALU_DEP_4)
	v_add_co_u32 v16, s1, v39, v17
	s_wait_alu 0xf1ff
	v_add_co_ci_u32_e64 v17, s1, v40, v18, s1
	v_mov_b32_e32 v38, v19
	v_lshlrev_b64_e32 v[22:23], 2, v[35:36]
	v_add_co_u32 v24, s1, v39, v20
	s_wait_alu 0xf1ff
	v_add_co_ci_u32_e64 v25, s1, v40, v21, s1
	v_lshlrev_b64_e32 v[18:19], 2, v[37:38]
	s_delay_alu instid0(VALU_DEP_4) | instskip(SKIP_2) | instid1(VALU_DEP_3)
	v_add_co_u32 v22, s1, v39, v22
	s_wait_alu 0xf1ff
	v_add_co_ci_u32_e64 v23, s1, v40, v23, s1
	v_add_co_u32 v26, s1, v39, v18
	s_wait_alu 0xf1ff
	v_add_co_ci_u32_e64 v27, s1, v40, v19, s1
	s_clause 0x4
	global_load_b32 v20, v[6:7], off
	global_load_b32 v19, v[16:17], off
	;; [unrolled: 1-line block ×5, first 2 shown]
	s_wait_loadcnt 0xc
	v_lshrrev_b32_e32 v18, 16, v8
	s_wait_loadcnt 0xb
	v_lshrrev_b32_e32 v33, 16, v15
	;; [unrolled: 2-line block ×13, first 2 shown]
.LBB0_11:
	s_wait_alu 0xfffe
	s_or_b32 exec_lo, exec_lo, s10
	v_and_b32_e32 v0, 1, v34
	s_add_nc_u64 s[2:3], s[14:15], s[2:3]
	s_delay_alu instid0(VALU_DEP_1) | instskip(SKIP_1) | instid1(VALU_DEP_1)
	v_cmp_eq_u32_e64 s1, 1, v0
	s_wait_alu 0xf1ff
	v_cndmask_b32_e64 v0, 0, 0x104, s1
	s_delay_alu instid0(VALU_DEP_1)
	v_lshlrev_b32_e32 v0, 2, v0
	s_and_saveexec_b32 s1, s0
	s_cbranch_execz .LBB0_13
; %bb.12:
	v_sub_f16_e32 v53, v15, v16
	v_add_f16_e32 v36, v33, v22
	v_sub_f16_e32 v52, v14, v17
	v_add_f16_e32 v35, v32, v23
	v_sub_f16_e32 v51, v13, v21
	v_mul_f16_e32 v63, 0xbb7b, v53
	v_add_f16_e32 v6, v31, v26
	v_mul_f16_e32 v64, 0x394e, v52
	v_sub_f16_e32 v50, v12, v19
	v_mul_f16_e32 v65, 0x3770, v51
	v_fma_f16 v37, v36, 0xb5ac, -v63
	v_add_f16_e32 v7, v30, v24
	v_fma_f16 v38, v35, 0xb9fd, -v64
	v_add_f16_e32 v55, v15, v16
	v_mul_f16_e32 v66, 0xbbf1, v50
	v_add_f16_e32 v39, v18, v37
	v_sub_f16_e32 v37, v33, v22
	v_fma_f16 v40, v6, 0x3b15, -v65
	v_sub_f16_e32 v49, v11, v20
	v_add_f16_e32 v56, v14, v17
	v_add_f16_e32 v39, v39, v38
	v_mul_f16_e32 v67, 0xbb7b, v37
	v_sub_f16_e32 v38, v32, v23
	v_fma_f16 v41, v7, 0x2fb7, -v66
	v_add_f16_e32 v34, v29, v25
	v_add_f16_e32 v39, v39, v40
	v_fmamk_f16 v42, v55, 0xb5ac, v67
	v_mul_f16_e32 v68, 0x394e, v38
	v_sub_f16_e32 v40, v31, v26
	v_mul_f16_e32 v69, 0x33a8, v49
	v_add_f16_e32 v43, v41, v39
	v_add_f16_e32 v39, v8, v42
	v_fmamk_f16 v42, v56, 0xb9fd, v68
	v_add_f16_e32 v57, v13, v21
	v_mul_f16_e32 v70, 0x3770, v40
	v_sub_f16_e32 v41, v30, v24
	v_fma_f16 v44, v34, 0xbbc4, -v69
	v_add_f16_e32 v42, v39, v42
	v_add_f16_e32 v58, v12, v19
	v_fmamk_f16 v45, v57, 0x3b15, v70
	v_mul_f16_e32 v71, 0xbbf1, v41
	v_mul_f16_e32 v72, 0xb94e, v53
	v_add_f16_e32 v43, v44, v43
	v_mul_f16_e32 v74, 0x3bf1, v52
	v_add_f16_e32 v42, v42, v45
	v_fmamk_f16 v45, v58, 0x2fb7, v71
	v_fma_f16 v44, v36, 0xb9fd, -v72
	v_sub_f16_e32 v59, v10, v9
	v_fma_f16 v48, v35, 0x2fb7, -v74
	v_mul_f16_e32 v75, 0xba95, v51
	v_add_f16_e32 v45, v45, v42
	v_sub_f16_e32 v42, v29, v25
	v_add_f16_e32 v47, v18, v44
	v_add_f16_e32 v39, v28, v27
	v_mul_f16_e32 v73, 0x3a95, v59
	v_add_f16_e32 v62, v11, v20
	v_mul_f16_e32 v76, 0x33a8, v42
	v_sub_f16_e32 v44, v28, v27
	v_add_f16_e32 v47, v47, v48
	v_fma_f16 v48, v6, 0x388b, -v75
	v_mul_f16_e32 v77, 0x33a8, v50
	v_fma_f16 v46, v39, 0x388b, -v73
	v_fmamk_f16 v54, v62, 0xbbc4, v76
	v_add_f16_e32 v60, v10, v9
	v_mul_f16_e32 v78, 0x3a95, v44
	v_add_f16_e32 v47, v47, v48
	v_fma_f16 v48, v7, 0xbbc4, -v77
	v_mul_f16_e32 v79, 0x3770, v49
	v_mul_f16_e32 v80, 0xb94e, v37
	v_add_f16_e32 v45, v54, v45
	v_fmamk_f16 v54, v60, 0x388b, v78
	v_add_f16_e32 v47, v48, v47
	v_fma_f16 v48, v34, 0x3b15, -v79
	v_add_f16_e32 v43, v46, v43
	v_fmamk_f16 v46, v55, 0xb9fd, v80
	v_mul_f16_e32 v81, 0x3bf1, v38
	v_add_f16_e32 v45, v54, v45
	v_add_f16_e32 v47, v48, v47
	v_mul_f16_e32 v48, 0xb3a8, v53
	v_add_f16_e32 v46, v8, v46
	v_fmamk_f16 v54, v56, 0x2fb7, v81
	v_mul_f16_e32 v82, 0xba95, v40
	v_fmac_f16_e32 v72, 0xb9fd, v36
	v_fma_f16 v80, v55, 0xb9fd, -v80
	v_fma_f16 v61, v36, 0xbbc4, -v48
	v_mul_f16_e32 v84, 0x3770, v52
	v_add_f16_e32 v46, v46, v54
	v_fmamk_f16 v54, v57, 0x388b, v82
	v_mul_f16_e32 v85, 0x33a8, v41
	v_add_f16_e32 v72, v18, v72
	v_fmac_f16_e32 v74, 0x2fb7, v35
	v_add_f16_e32 v80, v8, v80
	v_fma_f16 v81, v56, 0x2fb7, -v81
	v_add_f16_e32 v61, v18, v61
	v_fma_f16 v86, v35, 0x3b15, -v84
	v_mul_f16_e32 v87, 0xb94e, v51
	v_add_f16_e32 v46, v46, v54
	v_fmamk_f16 v54, v58, 0xbbc4, v85
	v_mul_f16_e32 v88, 0x3770, v42
	v_add_f16_e32 v72, v72, v74
	v_fmac_f16_e32 v75, 0x388b, v6
	v_add_f16_e32 v80, v80, v81
	v_fma_f16 v81, v57, 0x388b, -v82
	v_fmac_f16_e32 v63, 0xb5ac, v36
	v_add_f16_e32 v61, v61, v86
	v_fma_f16 v86, v6, 0xb9fd, -v87
	v_mul_f16_e32 v89, 0x3a95, v50
	v_add_f16_e32 v46, v54, v46
	v_fmamk_f16 v54, v62, 0x3b15, v88
	v_mul_f16_e32 v91, 0xb3a8, v37
	v_add_f16_e32 v72, v72, v75
	v_fmac_f16_e32 v77, 0xbbc4, v7
	v_add_f16_e32 v75, v80, v81
	v_fma_f16 v80, v58, 0xbbc4, -v85
	v_add_f16_e32 v63, v18, v63
	v_fmac_f16_e32 v64, 0xb9fd, v35
	v_mul_f16_e32 v83, 0xbb7b, v59
	v_mul_f16_e32 v90, 0xbb7b, v44
	v_add_f16_e32 v61, v61, v86
	v_fma_f16 v86, v7, 0x388b, -v89
	v_mul_f16_e32 v92, 0xbb7b, v49
	v_add_f16_e32 v54, v54, v46
	v_fmamk_f16 v46, v55, 0xbbc4, v91
	v_mul_f16_e32 v95, 0x3770, v38
	v_add_f16_e32 v72, v77, v72
	v_add_f16_e32 v75, v80, v75
	v_fma_f16 v77, v62, 0x3b15, -v88
	v_add_f16_e32 v63, v63, v64
	v_fmac_f16_e32 v65, 0x3b15, v6
	v_fma_f16 v93, v39, 0xb5ac, -v83
	v_fmamk_f16 v94, v60, 0xb5ac, v90
	v_add_f16_e32 v61, v86, v61
	v_fma_f16 v86, v34, 0xb5ac, -v92
	v_mul_f16_e32 v96, 0x3bf1, v59
	v_add_f16_e32 v97, v8, v46
	v_fmamk_f16 v98, v56, 0x3b15, v95
	v_mul_f16_e32 v99, 0xb94e, v40
	v_fmac_f16_e32 v48, 0xbbc4, v36
	v_add_f16_e32 v64, v77, v75
	v_fma_f16 v75, v60, 0xb5ac, -v90
	v_fma_f16 v67, v55, 0xb5ac, -v67
	v_add_f16_e32 v63, v63, v65
	v_fmac_f16_e32 v66, 0x2fb7, v7
	v_mul_f16_e32 v65, 0xbbf1, v53
	v_add_f16_e32 v46, v93, v47
	v_add_f16_e32 v47, v94, v54
	;; [unrolled: 1-line block ×3, first 2 shown]
	v_fmamk_f16 v93, v57, 0xb9fd, v99
	v_mul_f16_e32 v94, 0x3a95, v41
	v_add_f16_e32 v48, v18, v48
	v_fmac_f16_e32 v84, 0x3b15, v35
	v_add_f16_e32 v61, v86, v61
	v_fma_f16 v86, v39, 0x2fb7, -v96
	v_add_f16_e32 v64, v75, v64
	v_add_f16_e32 v67, v8, v67
	v_fma_f16 v68, v56, 0xb9fd, -v68
	v_add_f16_e32 v63, v66, v63
	v_fmac_f16_e32 v69, 0xbbc4, v34
	v_fmamk_f16 v66, v36, 0x2fb7, v65
	v_mul_f16_e32 v75, 0xb3a8, v52
	v_add_f16_e32 v54, v54, v93
	v_fmamk_f16 v93, v58, 0x388b, v94
	v_add_f16_e32 v84, v48, v84
	v_fmac_f16_e32 v87, 0xb9fd, v6
	v_add_f16_e32 v48, v86, v61
	v_mul_f16_e32 v86, 0xbb7b, v42
	v_fma_f16 v61, v55, 0xbbc4, -v91
	v_add_f16_e32 v67, v67, v68
	v_fma_f16 v68, v57, 0x3b15, -v70
	v_add_f16_e32 v63, v69, v63
	v_add_f16_e32 v66, v18, v66
	v_fmamk_f16 v69, v35, 0xbbc4, v75
	v_mul_f16_e32 v70, 0x3b7b, v51
	v_add_f16_e32 v54, v93, v54
	v_add_f16_e32 v84, v84, v87
	v_fmac_f16_e32 v89, 0x388b, v7
	v_fmamk_f16 v87, v62, 0xb5ac, v86
	v_add_f16_e32 v61, v8, v61
	v_mul_f16_e32 v91, 0x3bf1, v44
	v_fma_f16 v93, v56, 0x3b15, -v95
	v_add_f16_e32 v67, v67, v68
	v_fma_f16 v68, v58, 0x2fb7, -v71
	v_fmac_f16_e32 v73, 0x388b, v39
	v_add_f16_e32 v66, v66, v69
	v_fmamk_f16 v69, v6, 0xb5ac, v70
	v_mul_f16_e32 v71, 0x3770, v50
	v_add_f16_e32 v84, v89, v84
	v_fmac_f16_e32 v92, 0xb5ac, v34
	v_add_f16_e32 v54, v87, v54
	v_fmamk_f16 v87, v60, 0x2fb7, v91
	v_add_f16_e32 v61, v61, v93
	v_fma_f16 v89, v57, 0xb9fd, -v99
	v_add_f16_e32 v67, v68, v67
	v_fma_f16 v68, v62, 0xbbc4, -v76
	v_add_f16_e32 v63, v73, v63
	v_add_f16_e32 v66, v66, v69
	v_fmamk_f16 v69, v7, 0x3b15, v71
	v_mul_f16_e32 v73, 0xba95, v49
	v_add_f16_e32 v84, v92, v84
	v_fmac_f16_e32 v96, 0x2fb7, v39
	v_add_f16_e32 v54, v87, v54
	v_add_f16_e32 v87, v61, v89
	v_fma_f16 v89, v58, 0x388b, -v94
	v_fmac_f16_e32 v79, 0x3b15, v34
	v_add_f16_e32 v67, v68, v67
	v_fma_f16 v68, v60, 0x388b, -v78
	v_mul_f16_e32 v76, 0x2fb7, v55
	v_add_f16_e32 v66, v69, v66
	v_fmamk_f16 v69, v34, 0x388b, v73
	v_mul_f16_e32 v77, 0xb94e, v59
	v_add_f16_e32 v61, v96, v84
	v_add_f16_e32 v84, v89, v87
	v_fma_f16 v86, v62, 0xb5ac, -v86
	v_add_f16_e32 v72, v79, v72
	v_add_f16_e32 v67, v68, v67
	v_fmamk_f16 v68, v37, 0x3bf1, v76
	v_mul_f16_e32 v78, 0xbbc4, v56
	v_add_f16_e32 v66, v69, v66
	v_fmamk_f16 v69, v39, 0xb9fd, v77
	v_mul_f16_e32 v79, 0xba95, v53
	v_add_f16_e32 v74, v86, v84
	v_fma_f16 v84, v60, 0x2fb7, -v91
	v_fmac_f16_e32 v83, 0xb5ac, v39
	v_add_f16_e32 v68, v8, v68
	v_fmamk_f16 v80, v38, 0x33a8, v78
	v_mul_f16_e32 v81, 0xb5ac, v57
	v_add_f16_e32 v66, v69, v66
	v_fmamk_f16 v69, v36, 0x388b, v79
	v_mul_f16_e32 v82, 0xbb7b, v52
	v_add_f16_e32 v74, v84, v74
	v_add_f16_e32 v72, v83, v72
	;; [unrolled: 1-line block ×3, first 2 shown]
	v_fmamk_f16 v80, v40, 0xbb7b, v81
	v_mul_f16_e32 v83, 0x3b15, v58
	v_add_f16_e32 v69, v18, v69
	v_fmamk_f16 v84, v35, 0xb5ac, v82
	v_mul_f16_e32 v85, 0xb3a8, v51
	v_add_f16_e32 v68, v68, v80
	;; [unrolled: 3-line block ×3, first 2 shown]
	v_fmamk_f16 v84, v6, 0xbbc4, v85
	v_mul_f16_e32 v87, 0x394e, v50
	v_mul_f16_e32 v88, 0x388b, v55
	v_add_f16_e32 v68, v80, v68
	v_fmamk_f16 v80, v42, 0x3a95, v86
	v_mul_f16_e32 v89, 0xb9fd, v60
	v_add_f16_e32 v69, v69, v84
	v_fmamk_f16 v84, v7, 0xb9fd, v87
	v_fmamk_f16 v91, v37, 0x3a95, v88
	v_mul_f16_e32 v92, 0xb5ac, v56
	v_add_f16_e32 v68, v80, v68
	v_fmamk_f16 v80, v44, 0x394e, v89
	v_add_f16_e32 v69, v84, v69
	v_add_f16_e32 v84, v8, v91
	v_fmamk_f16 v91, v38, 0x3b7b, v92
	v_mul_f16_e32 v93, 0xbbc4, v57
	v_add_f16_e32 v68, v80, v68
	v_mul_f16_e32 v96, 0x2fb7, v62
	v_mul_f16_e32 v97, 0x3b15, v60
	v_add_f16_e32 v80, v84, v91
	v_fmamk_f16 v84, v40, 0x33a8, v93
	v_mul_f16_e32 v91, 0xb9fd, v58
	v_mul_f16_e32 v55, 0x3b15, v55
	;; [unrolled: 1-line block ×4, first 2 shown]
	v_add_f16_e32 v80, v80, v84
	v_fmamk_f16 v84, v41, 0xb94e, v91
	v_fma_f16 v65, v36, 0x2fb7, -v65
	v_fmamk_f16 v99, v38, 0x3a95, v56
	v_mul_f16_e32 v58, 0xb5ac, v58
	v_fma_f16 v75, v35, 0xbbc4, -v75
	v_add_f16_e32 v80, v84, v80
	v_fmamk_f16 v84, v42, 0xbbf1, v96
	v_add_f16_e32 v65, v18, v65
	v_mul_f16_e32 v62, 0xb9fd, v62
	v_fmac_f16_e32 v76, 0xbbf1, v37
	v_fma_f16 v70, v6, 0xb5ac, -v70
	v_add_f16_e32 v80, v84, v80
	v_fmamk_f16 v84, v44, 0xb770, v97
	v_add_f16_e32 v65, v65, v75
	v_fmamk_f16 v75, v42, 0x394e, v62
	v_add_f16_e32 v76, v8, v76
	v_mul_f16_e32 v60, 0xbbc4, v60
	v_add_f16_e32 v80, v84, v80
	v_fmamk_f16 v84, v37, 0x3770, v55
	v_fmac_f16_e32 v78, 0xb3a8, v38
	v_add_f16_e32 v65, v65, v70
	v_fma_f16 v70, v7, 0x3b15, -v71
	v_fmac_f16_e32 v81, 0x3b7b, v40
	v_add_f16_e32 v84, v8, v84
	v_add_f16_e32 v76, v76, v78
	;; [unrolled: 1-line block ×4, first 2 shown]
	v_fma_f16 v70, v34, 0x388b, -v73
	v_add_f16_e32 v84, v84, v99
	v_fmamk_f16 v99, v40, 0x3bf1, v57
	v_fma_f16 v73, v36, 0x388b, -v79
	v_add_f16_e32 v15, v8, v15
	v_add_f16_e32 v65, v70, v65
	v_fma_f16 v70, v39, 0xb9fd, -v77
	v_add_f16_e32 v84, v84, v99
	v_fmamk_f16 v99, v41, 0x3b7b, v58
	v_add_f16_e32 v73, v18, v73
	v_mul_f16_e32 v90, 0x3bf1, v49
	v_add_f16_e32 v65, v70, v65
	v_add_f16_e32 v32, v33, v32
	;; [unrolled: 1-line block ×4, first 2 shown]
	v_mul_f16_e32 v95, 0x3770, v59
	v_fma_f16 v15, v34, 0x2fb7, -v90
	v_add_f16_e32 v31, v32, v31
	v_add_f16_e32 v71, v75, v84
	v_fmamk_f16 v75, v44, 0x33a8, v60
	v_add_f16_e32 v13, v14, v13
	v_fmamk_f16 v94, v34, 0x2fb7, v90
	v_add_f16_e32 v30, v31, v30
	v_mul_f16_e32 v53, 0xb770, v53
	v_add_f16_e32 v71, v75, v71
	v_add_f16_e32 v75, v76, v81
	v_fma_f16 v76, v35, 0xb5ac, -v82
	v_add_f16_e32 v12, v13, v12
	v_add_f16_e32 v69, v94, v69
	v_fmamk_f16 v94, v39, 0x3b15, v95
	v_mul_f16_e32 v52, 0xba95, v52
	v_add_f16_e32 v70, v73, v76
	v_fma_f16 v73, v6, 0xbbc4, -v85
	v_add_f16_e32 v11, v12, v11
	v_add_f16_e32 v69, v94, v69
	v_fmamk_f16 v94, v36, 0x3b15, v53
	v_fmamk_f16 v98, v35, 0x388b, v52
	v_add_f16_e32 v70, v70, v73
	v_fma_f16 v73, v7, 0xb9fd, -v87
	v_add_f16_e32 v10, v11, v10
	v_add_f16_e32 v94, v18, v94
	v_mul_f16_e32 v51, 0xbbf1, v51
	v_fmac_f16_e32 v88, 0xba95, v37
	v_add_f16_e32 v70, v73, v70
	v_add_f16_e32 v9, v10, v9
	v_fmac_f16_e32 v55, 0xb770, v37
	v_add_f16_e32 v94, v94, v98
	v_fmamk_f16 v98, v6, 0x2fb7, v51
	v_add_f16_e32 v14, v15, v70
	v_fma_f16 v15, v39, 0x3b15, -v95
	v_add_f16_e32 v9, v9, v20
	v_mul_f16_e32 v50, 0xbb7b, v50
	v_add_f16_e32 v76, v8, v88
	v_fmac_f16_e32 v92, 0xbb7b, v38
	v_add_f16_e32 v14, v15, v14
	v_add_f16_e32 v15, v30, v29
	v_fma_f16 v29, v36, 0x3b15, -v53
	v_add_f16_e32 v8, v8, v55
	v_fmac_f16_e32 v56, 0xba95, v38
	v_fma_f16 v6, v6, 0x2fb7, -v51
	v_add_f16_e32 v15, v15, v28
	v_add_f16_e32 v11, v18, v29
	v_fma_f16 v18, v35, 0x388b, -v52
	v_add_f16_e32 v9, v9, v19
	v_add_f16_e32 v94, v94, v98
	;; [unrolled: 1-line block ×3, first 2 shown]
	v_fmamk_f16 v98, v7, 0xb5ac, v50
	v_add_f16_e32 v10, v11, v18
	v_mul_f16_e32 v49, 0xb94e, v49
	v_add_f16_e32 v76, v76, v92
	v_add_f16_e32 v11, v15, v25
	v_fmac_f16_e32 v93, 0xb3a8, v40
	v_add_f16_e32 v8, v8, v56
	v_fmac_f16_e32 v57, 0xbbf1, v40
	v_add_f16_e32 v6, v10, v6
	v_add_f16_e32 v11, v11, v24
	v_fma_f16 v7, v7, 0xb5ac, -v50
	v_add_f16_e32 v9, v9, v21
	v_fmac_f16_e32 v83, 0x3770, v41
	v_add_f16_e32 v33, v76, v93
	v_add_f16_e32 v10, v11, v26
	v_fmac_f16_e32 v91, 0x394e, v41
	v_add_f16_e32 v8, v8, v57
	v_fmac_f16_e32 v58, 0xbb7b, v41
	v_add_f16_e32 v6, v7, v6
	v_fma_f16 v7, v34, 0xb9fd, -v49
	v_add_f16_e32 v10, v23, v10
	v_add_f16_e32 v9, v17, v9
	;; [unrolled: 1-line block ×3, first 2 shown]
	v_fmamk_f16 v98, v34, 0xb9fd, v49
	v_mul_f16_e32 v59, 0xb3a8, v59
	v_add_f16_e32 v75, v83, v75
	v_fmac_f16_e32 v86, 0xba95, v42
	v_add_f16_e32 v32, v91, v33
	v_fmac_f16_e32 v96, 0x3bf1, v42
	;; [unrolled: 2-line block ×3, first 2 shown]
	v_add_f16_e32 v6, v7, v6
	v_add_f16_e32 v7, v22, v10
	;; [unrolled: 1-line block ×4, first 2 shown]
	v_fmamk_f16 v98, v39, 0xbbc4, v59
	v_add_f16_e32 v75, v86, v75
	v_fmac_f16_e32 v89, 0xb94e, v44
	v_add_f16_e32 v12, v96, v32
	v_fmac_f16_e32 v97, 0x3770, v44
	v_fma_f16 v10, v39, 0xbbc4, -v59
	v_add_f16_e32 v8, v62, v8
	v_fmac_f16_e32 v60, 0xb3a8, v44
	v_lshlrev_b32_e32 v7, 16, v7
	v_and_b32_e32 v9, 0xffff, v9
	v_mul_u32_u24_e32 v11, 52, v5
	v_add_f16_e32 v94, v98, v94
	v_add_f16_e32 v13, v89, v75
	;; [unrolled: 1-line block ×5, first 2 shown]
	v_or_b32_e32 v7, v7, v9
	v_add3_u32 v9, 0, v11, v0
	v_pack_b32_f16 v10, v80, v69
	v_pack_b32_f16 v11, v71, v94
	;; [unrolled: 1-line block ×12, first 2 shown]
	ds_store_b32 v9, v7
	ds_store_2addr_b32 v9, v11, v10 offset0:1 offset1:2
	ds_store_2addr_b32 v9, v16, v15 offset0:3 offset1:4
	ds_store_2addr_b32 v9, v18, v17 offset0:5 offset1:6
	ds_store_2addr_b32 v9, v20, v19 offset0:7 offset1:8
	ds_store_2addr_b32 v9, v21, v13 offset0:9 offset1:10
	ds_store_2addr_b32 v9, v8, v6 offset0:11 offset1:12
.LBB0_13:
	s_wait_alu 0xfffe
	s_or_b32 exec_lo, exec_lo, s1
	v_dual_mov_b32 v7, 0 :: v_dual_add_nc_u32 v6, -13, v5
	v_cmp_gt_u32_e64 s0, 13, v5
	s_load_b64 s[2:3], s[2:3], 0x0
	global_wb scope:SCOPE_SE
	s_wait_dscnt 0x0
	s_wait_kmcnt 0x0
	s_barrier_signal -1
	s_barrier_wait -1
	v_cndmask_b32_e64 v26, v6, v5, s0
	global_inv scope:SCOPE_SE
	v_mul_i32_i24_e32 v6, 9, v26
	v_lshlrev_b32_e32 v26, 2, v26
	s_delay_alu instid0(VALU_DEP_2) | instskip(NEXT) | instid1(VALU_DEP_1)
	v_lshlrev_b64_e32 v[8:9], 2, v[6:7]
	v_add_co_u32 v8, s0, s8, v8
	s_wait_alu 0xf1ff
	s_delay_alu instid0(VALU_DEP_2)
	v_add_co_ci_u32_e64 v9, s0, s9, v9, s0
	v_cmp_lt_u32_e64 s0, 12, v5
	s_clause 0x2
	global_load_b128 v[10:13], v[8:9], off
	global_load_b128 v[14:17], v[8:9], off offset:16
	global_load_b32 v6, v[8:9], off offset:32
	v_lshlrev_b32_e32 v9, 2, v5
	s_wait_alu 0xf1ff
	v_cndmask_b32_e64 v28, 0, 0x208, s0
	s_delay_alu instid0(VALU_DEP_2)
	v_add3_u32 v8, 0, v0, v9
	v_add3_u32 v9, 0, v9, v0
	ds_load_b32 v27, v8
	ds_load_2addr_b32 v[18:19], v9 offset0:130 offset1:156
	ds_load_2addr_b32 v[20:21], v9 offset0:182 offset1:208
	ds_load_b32 v29, v9 offset:936
	ds_load_2addr_b32 v[22:23], v9 offset0:26 offset1:52
	ds_load_2addr_b32 v[24:25], v9 offset0:78 offset1:104
	v_add_nc_u32_e32 v28, 0, v28
	global_wb scope:SCOPE_SE
	s_wait_loadcnt_dscnt 0x0
	s_barrier_signal -1
	s_barrier_wait -1
	global_inv scope:SCOPE_SE
	v_add3_u32 v0, v28, v26, v0
	v_lshrrev_b32_e32 v26, 16, v27
	v_lshrrev_b32_e32 v28, 16, v19
	;; [unrolled: 1-line block ×19, first 2 shown]
	v_mul_f16_e32 v47, v38, v33
	v_mul_f16_e32 v38, v38, v22
	;; [unrolled: 1-line block ×18, first 2 shown]
	v_fma_f16 v22, v10, v22, -v47
	v_fmac_f16_e32 v38, v10, v33
	v_fma_f16 v10, v11, v23, -v48
	v_fmac_f16_e32 v39, v11, v34
	;; [unrolled: 2-line block ×9, first 2 shown]
	v_add_f16_e32 v6, v27, v10
	v_add_f16_e32 v18, v12, v14
	v_sub_f16_e32 v19, v39, v45
	v_sub_f16_e32 v21, v10, v12
	;; [unrolled: 1-line block ×3, first 2 shown]
	v_add_f16_e32 v24, v10, v16
	v_add_f16_e32 v29, v26, v39
	;; [unrolled: 1-line block ×3, first 2 shown]
	v_sub_f16_e32 v32, v39, v41
	v_add_f16_e32 v34, v39, v45
	v_sub_f16_e32 v35, v41, v39
	v_add_f16_e32 v37, v22, v11
	v_add_f16_e32 v39, v13, v15
	;; [unrolled: 1-line block ×5, first 2 shown]
	v_sub_f16_e32 v25, v12, v10
	v_sub_f16_e32 v28, v14, v16
	;; [unrolled: 1-line block ×7, first 2 shown]
	v_add_f16_e32 v54, v38, v40
	v_sub_f16_e32 v11, v11, v17
	v_sub_f16_e32 v56, v13, v15
	v_add_f16_e32 v6, v6, v12
	v_fma_f16 v12, -0.5, v18, v27
	v_add_f16_e32 v18, v21, v23
	v_fmac_f16_e32 v27, -0.5, v24
	v_add_f16_e32 v23, v29, v41
	v_fma_f16 v24, -0.5, v30, v26
	v_fmac_f16_e32 v26, -0.5, v34
	v_add_f16_e32 v13, v37, v13
	v_fma_f16 v29, -0.5, v39, v22
	v_fma_f16 v34, -0.5, v55, v38
	v_sub_f16_e32 v48, v42, v44
	v_fmac_f16_e32 v22, -0.5, v51
	v_fmac_f16_e32 v38, -0.5, v59
	v_sub_f16_e32 v36, v43, v45
	v_sub_f16_e32 v50, v17, v15
	;; [unrolled: 1-line block ×7, first 2 shown]
	v_add_f16_e32 v21, v25, v28
	v_add_f16_e32 v25, v32, v33
	;; [unrolled: 1-line block ×4, first 2 shown]
	v_fmamk_f16 v15, v47, 0x3b9c, v29
	v_fmamk_f16 v42, v11, 0xbb9c, v34
	v_sub_f16_e32 v20, v41, v43
	v_add_f16_e32 v23, v23, v43
	v_fmamk_f16 v41, v48, 0xbb9c, v22
	v_fmac_f16_e32 v22, 0x3b9c, v48
	v_fmamk_f16 v43, v56, 0x3b9c, v38
	v_fmac_f16_e32 v38, 0xbb9c, v56
	v_sub_f16_e32 v10, v10, v16
	v_fmac_f16_e32 v29, 0xbb9c, v47
	v_fmac_f16_e32 v34, 0x3b9c, v11
	v_add_f16_e32 v28, v35, v36
	v_add_f16_e32 v30, v49, v50
	;; [unrolled: 1-line block ×5, first 2 shown]
	v_fmamk_f16 v40, v31, 0x3b9c, v26
	v_fmac_f16_e32 v26, 0xbb9c, v31
	v_add_f16_e32 v33, v33, v44
	v_fmac_f16_e32 v15, 0x38b4, v48
	v_fmac_f16_e32 v42, 0xb8b4, v56
	v_add_f16_e32 v32, v52, v53
	v_fmamk_f16 v14, v19, 0x3b9c, v12
	v_fmac_f16_e32 v12, 0xbb9c, v19
	v_fmamk_f16 v37, v20, 0xbb9c, v27
	v_fmac_f16_e32 v27, 0x3b9c, v20
	v_fmac_f16_e32 v41, 0x38b4, v47
	;; [unrolled: 1-line block ×5, first 2 shown]
	v_fmamk_f16 v39, v10, 0xbb9c, v24
	v_fmac_f16_e32 v24, 0x3b9c, v10
	v_fmac_f16_e32 v29, 0xb8b4, v48
	;; [unrolled: 1-line block ×3, first 2 shown]
	v_add_f16_e32 v6, v6, v16
	v_add_f16_e32 v16, v23, v45
	v_fmac_f16_e32 v40, 0xb8b4, v10
	v_fmac_f16_e32 v26, 0x38b4, v10
	v_add_f16_e32 v10, v13, v17
	v_add_f16_e32 v13, v33, v46
	v_fmac_f16_e32 v15, 0x34f2, v30
	v_fmac_f16_e32 v42, 0x34f2, v35
	;; [unrolled: 1-line block ×14, first 2 shown]
	v_add_f16_e32 v11, v6, v10
	v_add_f16_e32 v17, v16, v13
	v_sub_f16_e32 v6, v6, v10
	v_sub_f16_e32 v10, v16, v13
	v_mul_f16_e32 v13, 0x38b4, v42
	v_mul_f16_e32 v20, 0xb8b4, v15
	v_fmac_f16_e32 v14, 0x34f2, v18
	v_fmac_f16_e32 v12, 0x34f2, v18
	;; [unrolled: 1-line block ×4, first 2 shown]
	v_mul_f16_e32 v16, 0x3b9c, v43
	v_mul_f16_e32 v18, 0x34f2, v22
	;; [unrolled: 1-line block ×4, first 2 shown]
	v_fmac_f16_e32 v39, 0x34f2, v25
	v_fmac_f16_e32 v24, 0x34f2, v25
	v_mul_f16_e32 v19, 0x3a79, v29
	v_mul_f16_e32 v25, 0x3a79, v34
	v_fmac_f16_e32 v13, 0x3a79, v15
	v_fmac_f16_e32 v20, 0x3a79, v42
	;; [unrolled: 1-line block ×4, first 2 shown]
	v_pack_b32_f16 v11, v11, v17
	v_pack_b32_f16 v6, v6, v10
	v_fmac_f16_e32 v16, 0x34f2, v41
	v_fma_f16 v10, v38, 0x3b9c, -v18
	v_fmac_f16_e32 v21, 0x34f2, v43
	v_fma_f16 v17, v22, 0xbb9c, -v23
	v_fma_f16 v15, v34, 0x38b4, -v19
	;; [unrolled: 1-line block ×3, first 2 shown]
	v_add_f16_e32 v19, v14, v13
	v_add_f16_e32 v28, v39, v20
	;; [unrolled: 1-line block ×8, first 2 shown]
	v_sub_f16_e32 v13, v14, v13
	v_sub_f16_e32 v14, v37, v16
	v_sub_f16_e32 v12, v12, v15
	v_sub_f16_e32 v15, v39, v20
	v_sub_f16_e32 v16, v40, v21
	v_sub_f16_e32 v10, v27, v10
	v_sub_f16_e32 v17, v26, v17
	v_sub_f16_e32 v18, v24, v18
	v_pack_b32_f16 v19, v19, v28
	v_pack_b32_f16 v20, v22, v29
	;; [unrolled: 1-line block ×8, first 2 shown]
	ds_store_2addr_b32 v0, v11, v19 offset1:13
	ds_store_2addr_b32 v0, v20, v21 offset0:26 offset1:39
	ds_store_2addr_b32 v0, v22, v6 offset0:52 offset1:65
	;; [unrolled: 1-line block ×4, first 2 shown]
	global_wb scope:SCOPE_SE
	s_wait_dscnt 0x0
	s_barrier_signal -1
	s_barrier_wait -1
	global_inv scope:SCOPE_SE
	s_and_saveexec_b32 s0, vcc_lo
	s_cbranch_execz .LBB0_15
; %bb.14:
	v_dual_mov_b32 v6, v7 :: v_dual_add_nc_u32 v35, 26, v5
	v_add_nc_u32_e32 v34, 0x82, v5
	v_mad_co_u64_u32 v[16:17], null, s16, v5, 0
	s_delay_alu instid0(VALU_DEP_3) | instskip(NEXT) | instid1(VALU_DEP_4)
	v_lshlrev_b64_e32 v[6:7], 2, v[5:6]
	v_mad_co_u64_u32 v[20:21], null, s16, v35, 0
	s_delay_alu instid0(VALU_DEP_4) | instskip(SKIP_1) | instid1(VALU_DEP_4)
	v_mad_co_u64_u32 v[18:19], null, s16, v34, 0
	v_add_nc_u32_e32 v36, 0x9c, v5
	v_add_co_u32 v6, vcc_lo, s8, v6
	s_wait_alu 0xfffd
	v_add_co_ci_u32_e32 v7, vcc_lo, s9, v7, vcc_lo
	v_mul_lo_u32 v30, s3, v3
	v_mad_co_u64_u32 v[32:33], null, s17, v5, v[17:18]
	v_mov_b32_e32 v17, v21
	s_clause 0x4
	global_load_b32 v42, v[6:7], off offset:468
	global_load_b32 v43, v[6:7], off offset:572
	;; [unrolled: 1-line block ×5, first 2 shown]
	ds_load_2addr_b32 v[6:7], v9 offset0:78 offset1:104
	ds_load_2addr_b32 v[10:11], v9 offset0:182 offset1:208
	;; [unrolled: 1-line block ×4, first 2 shown]
	v_mad_co_u64_u32 v[22:23], null, s16, v36, 0
	v_add_nc_u32_e32 v37, 52, v5
	v_add_nc_u32_e32 v38, 0xb6, v5
	v_mul_lo_u32 v31, s2, v4
	v_mad_co_u64_u32 v[3:4], null, s2, v3, 0
	v_lshlrev_b64_e32 v[0:1], 2, v[1:2]
	v_add_nc_u32_e32 v2, 0x68, v5
	s_delay_alu instid0(VALU_DEP_3)
	v_add3_u32 v4, v4, v31, v30
	s_wait_dscnt 0x3
	v_mov_b32_e32 v47, v6
	s_wait_dscnt 0x1
	v_dual_mov_b32 v49, v12 :: v_dual_mov_b32 v48, v13
	v_mad_co_u64_u32 v[24:25], null, s16, v37, 0
	v_add_nc_u32_e32 v40, 0xd0, v5
	ds_load_b32 v52, v9 offset:936
	ds_load_u16_d16 v47, v9 offset:312
	ds_load_u16_d16 v49, v9 offset:104
	ds_load_b32 v53, v8
	v_add_nc_u32_e32 v39, 0x4e, v5
	v_mov_b32_e32 v5, v19
	v_mov_b32_e32 v19, v23
	v_mad_co_u64_u32 v[26:27], null, s16, v38, 0
	s_delay_alu instid0(VALU_DEP_4)
	v_mad_co_u64_u32 v[28:29], null, s16, v39, 0
	v_mov_b32_e32 v21, v25
	v_mad_co_u64_u32 v[30:31], null, s16, v40, 0
	v_mad_co_u64_u32 v[33:34], null, s17, v34, v[5:6]
	v_mov_b32_e32 v23, v27
	v_mul_hi_u32 v41, 0xfc0fc0fd, v2
	v_mov_b32_e32 v25, v29
	v_lshlrev_b64_e32 v[3:4], 2, v[3:4]
	v_mov_b32_e32 v27, v31
	v_mad_co_u64_u32 v[34:35], null, s17, v35, v[17:18]
	v_mad_co_u64_u32 v[35:36], null, s17, v36, v[19:20]
	v_lshrrev_b32_e32 v29, 7, v41
	v_mad_co_u64_u32 v[36:37], null, s17, v37, v[21:22]
	v_mad_co_u64_u32 v[37:38], null, s17, v38, v[23:24]
	;; [unrolled: 1-line block ×5, first 2 shown]
	v_add_co_u32 v2, vcc_lo, s6, v3
	s_wait_alu 0xfffd
	v_add_co_ci_u32_e32 v3, vcc_lo, s7, v4, vcc_lo
	v_mov_b32_e32 v17, v32
	s_delay_alu instid0(VALU_DEP_3)
	v_add_co_u32 v50, vcc_lo, v2, v0
	v_dual_mov_b32 v19, v33 :: v_dual_add_nc_u32 v32, 0x82, v40
	s_wait_alu 0xfffd
	v_add_co_ci_u32_e32 v51, vcc_lo, v3, v1, vcc_lo
	v_lshlrev_b64_e32 v[0:1], 2, v[16:17]
	v_mov_b32_e32 v21, v34
	v_mov_b32_e32 v25, v36
	;; [unrolled: 1-line block ×3, first 2 shown]
	v_lshlrev_b64_e32 v[4:5], 2, v[18:19]
	v_mad_co_u64_u32 v[2:3], null, s16, v40, 0
	v_lshlrev_b64_e32 v[16:17], 2, v[20:21]
	v_lshlrev_b64_e32 v[20:21], 2, v[24:25]
	;; [unrolled: 1-line block ×3, first 2 shown]
	v_mad_co_u64_u32 v[28:29], null, s16, v32, 0
	v_add_co_u32 v0, vcc_lo, v50, v0
	s_wait_alu 0xfffd
	v_add_co_ci_u32_e32 v1, vcc_lo, v51, v1, vcc_lo
	v_mov_b32_e32 v23, v35
	v_mov_b32_e32 v27, v37
	;; [unrolled: 1-line block ×3, first 2 shown]
	v_add_co_u32 v4, vcc_lo, v50, v4
	s_delay_alu instid0(VALU_DEP_4) | instskip(NEXT) | instid1(VALU_DEP_4)
	v_lshlrev_b64_e32 v[18:19], 2, v[22:23]
	v_lshlrev_b64_e32 v[22:23], 2, v[26:27]
	s_delay_alu instid0(VALU_DEP_4) | instskip(NEXT) | instid1(VALU_DEP_4)
	v_lshlrev_b64_e32 v[26:27], 2, v[30:31]
	v_mad_co_u64_u32 v[30:31], null, s17, v40, v[3:4]
	v_mov_b32_e32 v3, v29
	v_mov_b32_e32 v41, v7
	s_wait_alu 0xfffd
	v_add_co_ci_u32_e32 v5, vcc_lo, v51, v5, vcc_lo
	v_add_co_u32 v16, vcc_lo, v50, v16
	v_mad_co_u64_u32 v[31:32], null, s17, v32, v[3:4]
	s_wait_dscnt 0x0
	v_dual_mov_b32 v3, v30 :: v_dual_mov_b32 v30, v53
	ds_load_u16_d16 v41, v9 offset:416
	ds_load_u16_d16 v48, v9 offset:208
	ds_load_u16_d16 v30, v8
	s_wait_alu 0xfffd
	v_add_co_ci_u32_e32 v17, vcc_lo, v51, v17, vcc_lo
	v_mov_b32_e32 v29, v31
	v_add_co_u32 v18, vcc_lo, v50, v18
	s_wait_alu 0xfffd
	v_add_co_ci_u32_e32 v19, vcc_lo, v51, v19, vcc_lo
	s_delay_alu instid0(VALU_DEP_3)
	v_lshlrev_b64_e32 v[8:9], 2, v[28:29]
	v_add_co_u32 v20, vcc_lo, v50, v20
	s_wait_alu 0xfffd
	v_add_co_ci_u32_e32 v21, vcc_lo, v51, v21, vcc_lo
	v_add_co_u32 v22, vcc_lo, v50, v22
	s_wait_alu 0xfffd
	v_add_co_ci_u32_e32 v23, vcc_lo, v51, v23, vcc_lo
	v_add_co_u32 v24, vcc_lo, v50, v24
	v_lshlrev_b64_e32 v[2:3], 2, v[2:3]
	s_wait_alu 0xfffd
	v_add_co_ci_u32_e32 v25, vcc_lo, v51, v25, vcc_lo
	v_add_co_u32 v26, vcc_lo, v50, v26
	s_wait_alu 0xfffd
	v_add_co_ci_u32_e32 v27, vcc_lo, v51, v27, vcc_lo
	v_add_co_u32 v2, vcc_lo, v50, v2
	;; [unrolled: 3-line block ×3, first 2 shown]
	s_wait_alu 0xfffd
	v_add_co_ci_u32_e32 v9, vcc_lo, v51, v9, vcc_lo
	s_wait_loadcnt 0x4
	v_pk_mul_f16 v28, v42, v14 op_sel:[0,1]
	s_wait_loadcnt 0x3
	v_pk_mul_f16 v29, v43, v15 op_sel:[0,1]
	;; [unrolled: 2-line block ×5, first 2 shown]
	v_pk_fma_f16 v34, v42, v14, v28 op_sel:[0,0,1] op_sel_hi:[1,1,0] neg_lo:[0,0,1] neg_hi:[0,0,1]
	v_pk_fma_f16 v14, v42, v14, v28 op_sel:[0,0,1] op_sel_hi:[1,0,0]
	v_pk_fma_f16 v28, v43, v15, v29 op_sel:[0,0,1] op_sel_hi:[1,1,0] neg_lo:[0,0,1] neg_hi:[0,0,1]
	v_pk_fma_f16 v15, v43, v15, v29 op_sel:[0,0,1] op_sel_hi:[1,0,0]
	;; [unrolled: 2-line block ×5, first 2 shown]
	v_bfi_b32 v14, 0xffff, v34, v14
	v_bfi_b32 v15, 0xffff, v28, v15
	;; [unrolled: 1-line block ×5, first 2 shown]
	v_pk_add_f16 v14, v53, v14 neg_lo:[0,1] neg_hi:[0,1]
	v_pk_add_f16 v12, v12, v15 neg_lo:[0,1] neg_hi:[0,1]
	;; [unrolled: 1-line block ×5, first 2 shown]
	s_wait_dscnt 0x0
	v_pk_fma_f16 v11, v30, 2.0, v14 op_sel_hi:[1,0,1] neg_lo:[0,0,1] neg_hi:[0,0,1]
	v_pk_fma_f16 v13, v49, 2.0, v12 op_sel_hi:[1,0,1] neg_lo:[0,0,1] neg_hi:[0,0,1]
	;; [unrolled: 1-line block ×5, first 2 shown]
	s_clause 0x9
	global_store_b32 v[0:1], v11, off
	global_store_b32 v[4:5], v14, off
	;; [unrolled: 1-line block ×10, first 2 shown]
.LBB0_15:
	s_nop 0
	s_sendmsg sendmsg(MSG_DEALLOC_VGPRS)
	s_endpgm
	.section	.rodata,"a",@progbits
	.p2align	6, 0x0
	.amdhsa_kernel fft_rtc_fwd_len260_factors_13_10_2_wgs_52_tpt_26_half_op_CI_CI_sbrr_dirReg
		.amdhsa_group_segment_fixed_size 0
		.amdhsa_private_segment_fixed_size 0
		.amdhsa_kernarg_size 104
		.amdhsa_user_sgpr_count 2
		.amdhsa_user_sgpr_dispatch_ptr 0
		.amdhsa_user_sgpr_queue_ptr 0
		.amdhsa_user_sgpr_kernarg_segment_ptr 1
		.amdhsa_user_sgpr_dispatch_id 0
		.amdhsa_user_sgpr_private_segment_size 0
		.amdhsa_wavefront_size32 1
		.amdhsa_uses_dynamic_stack 0
		.amdhsa_enable_private_segment 0
		.amdhsa_system_sgpr_workgroup_id_x 1
		.amdhsa_system_sgpr_workgroup_id_y 0
		.amdhsa_system_sgpr_workgroup_id_z 0
		.amdhsa_system_sgpr_workgroup_info 0
		.amdhsa_system_vgpr_workitem_id 0
		.amdhsa_next_free_vgpr 100
		.amdhsa_next_free_sgpr 43
		.amdhsa_reserve_vcc 1
		.amdhsa_float_round_mode_32 0
		.amdhsa_float_round_mode_16_64 0
		.amdhsa_float_denorm_mode_32 3
		.amdhsa_float_denorm_mode_16_64 3
		.amdhsa_fp16_overflow 0
		.amdhsa_workgroup_processor_mode 1
		.amdhsa_memory_ordered 1
		.amdhsa_forward_progress 0
		.amdhsa_round_robin_scheduling 0
		.amdhsa_exception_fp_ieee_invalid_op 0
		.amdhsa_exception_fp_denorm_src 0
		.amdhsa_exception_fp_ieee_div_zero 0
		.amdhsa_exception_fp_ieee_overflow 0
		.amdhsa_exception_fp_ieee_underflow 0
		.amdhsa_exception_fp_ieee_inexact 0
		.amdhsa_exception_int_div_zero 0
	.end_amdhsa_kernel
	.text
.Lfunc_end0:
	.size	fft_rtc_fwd_len260_factors_13_10_2_wgs_52_tpt_26_half_op_CI_CI_sbrr_dirReg, .Lfunc_end0-fft_rtc_fwd_len260_factors_13_10_2_wgs_52_tpt_26_half_op_CI_CI_sbrr_dirReg
                                        ; -- End function
	.section	.AMDGPU.csdata,"",@progbits
; Kernel info:
; codeLenInByte = 8276
; NumSgprs: 45
; NumVgprs: 100
; ScratchSize: 0
; MemoryBound: 0
; FloatMode: 240
; IeeeMode: 1
; LDSByteSize: 0 bytes/workgroup (compile time only)
; SGPRBlocks: 5
; VGPRBlocks: 12
; NumSGPRsForWavesPerEU: 45
; NumVGPRsForWavesPerEU: 100
; Occupancy: 12
; WaveLimiterHint : 1
; COMPUTE_PGM_RSRC2:SCRATCH_EN: 0
; COMPUTE_PGM_RSRC2:USER_SGPR: 2
; COMPUTE_PGM_RSRC2:TRAP_HANDLER: 0
; COMPUTE_PGM_RSRC2:TGID_X_EN: 1
; COMPUTE_PGM_RSRC2:TGID_Y_EN: 0
; COMPUTE_PGM_RSRC2:TGID_Z_EN: 0
; COMPUTE_PGM_RSRC2:TIDIG_COMP_CNT: 0
	.text
	.p2alignl 7, 3214868480
	.fill 96, 4, 3214868480
	.type	__hip_cuid_9de44206aba609fd,@object ; @__hip_cuid_9de44206aba609fd
	.section	.bss,"aw",@nobits
	.globl	__hip_cuid_9de44206aba609fd
__hip_cuid_9de44206aba609fd:
	.byte	0                               ; 0x0
	.size	__hip_cuid_9de44206aba609fd, 1

	.ident	"AMD clang version 19.0.0git (https://github.com/RadeonOpenCompute/llvm-project roc-6.4.0 25133 c7fe45cf4b819c5991fe208aaa96edf142730f1d)"
	.section	".note.GNU-stack","",@progbits
	.addrsig
	.addrsig_sym __hip_cuid_9de44206aba609fd
	.amdgpu_metadata
---
amdhsa.kernels:
  - .args:
      - .actual_access:  read_only
        .address_space:  global
        .offset:         0
        .size:           8
        .value_kind:     global_buffer
      - .offset:         8
        .size:           8
        .value_kind:     by_value
      - .actual_access:  read_only
        .address_space:  global
        .offset:         16
        .size:           8
        .value_kind:     global_buffer
      - .actual_access:  read_only
        .address_space:  global
        .offset:         24
        .size:           8
        .value_kind:     global_buffer
      - .actual_access:  read_only
        .address_space:  global
        .offset:         32
        .size:           8
        .value_kind:     global_buffer
      - .offset:         40
        .size:           8
        .value_kind:     by_value
      - .actual_access:  read_only
        .address_space:  global
        .offset:         48
        .size:           8
        .value_kind:     global_buffer
      - .actual_access:  read_only
        .address_space:  global
        .offset:         56
        .size:           8
        .value_kind:     global_buffer
      - .offset:         64
        .size:           4
        .value_kind:     by_value
      - .actual_access:  read_only
        .address_space:  global
        .offset:         72
        .size:           8
        .value_kind:     global_buffer
      - .actual_access:  read_only
        .address_space:  global
        .offset:         80
        .size:           8
        .value_kind:     global_buffer
      - .actual_access:  read_only
        .address_space:  global
        .offset:         88
        .size:           8
        .value_kind:     global_buffer
      - .actual_access:  write_only
        .address_space:  global
        .offset:         96
        .size:           8
        .value_kind:     global_buffer
    .group_segment_fixed_size: 0
    .kernarg_segment_align: 8
    .kernarg_segment_size: 104
    .language:       OpenCL C
    .language_version:
      - 2
      - 0
    .max_flat_workgroup_size: 52
    .name:           fft_rtc_fwd_len260_factors_13_10_2_wgs_52_tpt_26_half_op_CI_CI_sbrr_dirReg
    .private_segment_fixed_size: 0
    .sgpr_count:     45
    .sgpr_spill_count: 0
    .symbol:         fft_rtc_fwd_len260_factors_13_10_2_wgs_52_tpt_26_half_op_CI_CI_sbrr_dirReg.kd
    .uniform_work_group_size: 1
    .uses_dynamic_stack: false
    .vgpr_count:     100
    .vgpr_spill_count: 0
    .wavefront_size: 32
    .workgroup_processor_mode: 1
amdhsa.target:   amdgcn-amd-amdhsa--gfx1201
amdhsa.version:
  - 1
  - 2
...

	.end_amdgpu_metadata
